;; amdgpu-corpus repo=ROCm/rocFFT kind=compiled arch=gfx906 opt=O3
	.text
	.amdgcn_target "amdgcn-amd-amdhsa--gfx906"
	.amdhsa_code_object_version 6
	.protected	fft_rtc_back_len96_factors_6_16_wgs_128_tpt_16_half_op_CI_CI_unitstride_sbrr_dirReg ; -- Begin function fft_rtc_back_len96_factors_6_16_wgs_128_tpt_16_half_op_CI_CI_unitstride_sbrr_dirReg
	.globl	fft_rtc_back_len96_factors_6_16_wgs_128_tpt_16_half_op_CI_CI_unitstride_sbrr_dirReg
	.p2align	8
	.type	fft_rtc_back_len96_factors_6_16_wgs_128_tpt_16_half_op_CI_CI_unitstride_sbrr_dirReg,@function
fft_rtc_back_len96_factors_6_16_wgs_128_tpt_16_half_op_CI_CI_unitstride_sbrr_dirReg: ; @fft_rtc_back_len96_factors_6_16_wgs_128_tpt_16_half_op_CI_CI_unitstride_sbrr_dirReg
; %bb.0:
	s_load_dwordx4 s[8:11], s[4:5], 0x58
	s_load_dwordx4 s[12:15], s[4:5], 0x0
	;; [unrolled: 1-line block ×3, first 2 shown]
	v_lshrrev_b32_e32 v12, 4, v0
	v_mov_b32_e32 v8, 0
	v_mov_b32_e32 v6, 0
	s_waitcnt lgkmcnt(0)
	v_cmp_lt_u64_e64 s[0:1], s[14:15], 2
	v_lshl_or_b32 v10, s6, 3, v12
	v_mov_b32_e32 v11, v8
	s_and_b64 vcc, exec, s[0:1]
	v_mov_b32_e32 v7, 0
	s_cbranch_vccnz .LBB0_8
; %bb.1:
	s_load_dwordx2 s[0:1], s[4:5], 0x10
	s_add_u32 s2, s18, 8
	s_addc_u32 s3, s19, 0
	s_add_u32 s6, s16, 8
	s_addc_u32 s7, s17, 0
	v_mov_b32_e32 v6, 0
	s_waitcnt lgkmcnt(0)
	s_add_u32 s20, s0, 8
	v_mov_b32_e32 v7, 0
	v_mov_b32_e32 v1, v6
	s_addc_u32 s21, s1, 0
	s_mov_b64 s[22:23], 1
	v_mov_b32_e32 v2, v7
.LBB0_2:                                ; =>This Inner Loop Header: Depth=1
	s_load_dwordx2 s[24:25], s[20:21], 0x0
                                        ; implicit-def: $vgpr3_vgpr4
	s_waitcnt lgkmcnt(0)
	v_or_b32_e32 v9, s25, v11
	v_cmp_ne_u64_e32 vcc, 0, v[8:9]
	s_and_saveexec_b64 s[0:1], vcc
	s_xor_b64 s[26:27], exec, s[0:1]
	s_cbranch_execz .LBB0_4
; %bb.3:                                ;   in Loop: Header=BB0_2 Depth=1
	v_cvt_f32_u32_e32 v3, s24
	v_cvt_f32_u32_e32 v4, s25
	s_sub_u32 s0, 0, s24
	s_subb_u32 s1, 0, s25
	v_mac_f32_e32 v3, 0x4f800000, v4
	v_rcp_f32_e32 v3, v3
	v_mul_f32_e32 v3, 0x5f7ffffc, v3
	v_mul_f32_e32 v4, 0x2f800000, v3
	v_trunc_f32_e32 v4, v4
	v_mac_f32_e32 v3, 0xcf800000, v4
	v_cvt_u32_f32_e32 v4, v4
	v_cvt_u32_f32_e32 v3, v3
	v_mul_lo_u32 v5, s0, v4
	v_mul_hi_u32 v9, s0, v3
	v_mul_lo_u32 v14, s1, v3
	v_mul_lo_u32 v13, s0, v3
	v_add_u32_e32 v5, v9, v5
	v_add_u32_e32 v5, v5, v14
	v_mul_hi_u32 v9, v3, v13
	v_mul_lo_u32 v14, v3, v5
	v_mul_hi_u32 v16, v3, v5
	v_mul_hi_u32 v15, v4, v13
	v_mul_lo_u32 v13, v4, v13
	v_mul_hi_u32 v17, v4, v5
	v_add_co_u32_e32 v9, vcc, v9, v14
	v_addc_co_u32_e32 v14, vcc, 0, v16, vcc
	v_mul_lo_u32 v5, v4, v5
	v_add_co_u32_e32 v9, vcc, v9, v13
	v_addc_co_u32_e32 v9, vcc, v14, v15, vcc
	v_addc_co_u32_e32 v13, vcc, 0, v17, vcc
	v_add_co_u32_e32 v5, vcc, v9, v5
	v_addc_co_u32_e32 v9, vcc, 0, v13, vcc
	v_add_co_u32_e32 v3, vcc, v3, v5
	v_addc_co_u32_e32 v4, vcc, v4, v9, vcc
	v_mul_lo_u32 v5, s0, v4
	v_mul_hi_u32 v9, s0, v3
	v_mul_lo_u32 v13, s1, v3
	v_mul_lo_u32 v14, s0, v3
	v_add_u32_e32 v5, v9, v5
	v_add_u32_e32 v5, v5, v13
	v_mul_lo_u32 v15, v3, v5
	v_mul_hi_u32 v16, v3, v14
	v_mul_hi_u32 v17, v3, v5
	v_mul_hi_u32 v13, v4, v14
	v_mul_lo_u32 v14, v4, v14
	v_mul_hi_u32 v9, v4, v5
	v_add_co_u32_e32 v15, vcc, v16, v15
	v_addc_co_u32_e32 v16, vcc, 0, v17, vcc
	v_mul_lo_u32 v5, v4, v5
	v_add_co_u32_e32 v14, vcc, v15, v14
	v_addc_co_u32_e32 v13, vcc, v16, v13, vcc
	v_addc_co_u32_e32 v9, vcc, 0, v9, vcc
	v_add_co_u32_e32 v5, vcc, v13, v5
	v_addc_co_u32_e32 v9, vcc, 0, v9, vcc
	v_add_co_u32_e32 v5, vcc, v3, v5
	v_addc_co_u32_e32 v9, vcc, v4, v9, vcc
	v_mad_u64_u32 v[3:4], s[0:1], v10, v9, 0
	v_mul_hi_u32 v13, v10, v5
	v_add_co_u32_e32 v15, vcc, v13, v3
	v_addc_co_u32_e32 v16, vcc, 0, v4, vcc
	v_mad_u64_u32 v[3:4], s[0:1], v11, v5, 0
	v_mad_u64_u32 v[13:14], s[0:1], v11, v9, 0
	v_add_co_u32_e32 v3, vcc, v15, v3
	v_addc_co_u32_e32 v3, vcc, v16, v4, vcc
	v_addc_co_u32_e32 v4, vcc, 0, v14, vcc
	v_add_co_u32_e32 v5, vcc, v3, v13
	v_addc_co_u32_e32 v9, vcc, 0, v4, vcc
	v_mul_lo_u32 v13, s25, v5
	v_mul_lo_u32 v14, s24, v9
	v_mad_u64_u32 v[3:4], s[0:1], s24, v5, 0
	v_add3_u32 v4, v4, v14, v13
	v_sub_u32_e32 v13, v11, v4
	v_mov_b32_e32 v14, s25
	v_sub_co_u32_e32 v3, vcc, v10, v3
	v_subb_co_u32_e64 v13, s[0:1], v13, v14, vcc
	v_subrev_co_u32_e64 v14, s[0:1], s24, v3
	v_subbrev_co_u32_e64 v13, s[0:1], 0, v13, s[0:1]
	v_cmp_le_u32_e64 s[0:1], s25, v13
	v_cndmask_b32_e64 v15, 0, -1, s[0:1]
	v_cmp_le_u32_e64 s[0:1], s24, v14
	v_cndmask_b32_e64 v14, 0, -1, s[0:1]
	v_cmp_eq_u32_e64 s[0:1], s25, v13
	v_cndmask_b32_e64 v13, v15, v14, s[0:1]
	v_add_co_u32_e64 v14, s[0:1], 2, v5
	v_addc_co_u32_e64 v15, s[0:1], 0, v9, s[0:1]
	v_add_co_u32_e64 v16, s[0:1], 1, v5
	v_addc_co_u32_e64 v17, s[0:1], 0, v9, s[0:1]
	v_subb_co_u32_e32 v4, vcc, v11, v4, vcc
	v_cmp_ne_u32_e64 s[0:1], 0, v13
	v_cmp_le_u32_e32 vcc, s25, v4
	v_cndmask_b32_e64 v13, v17, v15, s[0:1]
	v_cndmask_b32_e64 v15, 0, -1, vcc
	v_cmp_le_u32_e32 vcc, s24, v3
	v_cndmask_b32_e64 v3, 0, -1, vcc
	v_cmp_eq_u32_e32 vcc, s25, v4
	v_cndmask_b32_e32 v3, v15, v3, vcc
	v_cmp_ne_u32_e32 vcc, 0, v3
	v_cndmask_b32_e64 v3, v16, v14, s[0:1]
	v_cndmask_b32_e32 v4, v9, v13, vcc
	v_cndmask_b32_e32 v3, v5, v3, vcc
.LBB0_4:                                ;   in Loop: Header=BB0_2 Depth=1
	s_andn2_saveexec_b64 s[0:1], s[26:27]
	s_cbranch_execz .LBB0_6
; %bb.5:                                ;   in Loop: Header=BB0_2 Depth=1
	v_cvt_f32_u32_e32 v3, s24
	s_sub_i32 s26, 0, s24
	v_rcp_iflag_f32_e32 v3, v3
	v_mul_f32_e32 v3, 0x4f7ffffe, v3
	v_cvt_u32_f32_e32 v3, v3
	v_mul_lo_u32 v4, s26, v3
	v_mul_hi_u32 v4, v3, v4
	v_add_u32_e32 v3, v3, v4
	v_mul_hi_u32 v3, v10, v3
	v_mul_lo_u32 v4, v3, s24
	v_add_u32_e32 v5, 1, v3
	v_sub_u32_e32 v4, v10, v4
	v_subrev_u32_e32 v9, s24, v4
	v_cmp_le_u32_e32 vcc, s24, v4
	v_cndmask_b32_e32 v4, v4, v9, vcc
	v_cndmask_b32_e32 v3, v3, v5, vcc
	v_add_u32_e32 v5, 1, v3
	v_cmp_le_u32_e32 vcc, s24, v4
	v_cndmask_b32_e32 v3, v3, v5, vcc
	v_mov_b32_e32 v4, v8
.LBB0_6:                                ;   in Loop: Header=BB0_2 Depth=1
	s_or_b64 exec, exec, s[0:1]
	v_mul_lo_u32 v5, v4, s24
	v_mul_lo_u32 v9, v3, s25
	v_mad_u64_u32 v[13:14], s[0:1], v3, s24, 0
	s_load_dwordx2 s[0:1], s[6:7], 0x0
	s_load_dwordx2 s[24:25], s[2:3], 0x0
	v_add3_u32 v5, v14, v9, v5
	v_sub_co_u32_e32 v9, vcc, v10, v13
	v_subb_co_u32_e32 v5, vcc, v11, v5, vcc
	s_waitcnt lgkmcnt(0)
	v_mul_lo_u32 v10, s0, v5
	v_mul_lo_u32 v11, s1, v9
	v_mad_u64_u32 v[6:7], s[0:1], s0, v9, v[6:7]
	s_add_u32 s22, s22, 1
	s_addc_u32 s23, s23, 0
	s_add_u32 s2, s2, 8
	v_mul_lo_u32 v5, s24, v5
	v_mul_lo_u32 v13, s25, v9
	v_mad_u64_u32 v[1:2], s[0:1], s24, v9, v[1:2]
	v_add3_u32 v7, v11, v7, v10
	s_addc_u32 s3, s3, 0
	v_mov_b32_e32 v9, s14
	s_add_u32 s6, s6, 8
	v_mov_b32_e32 v10, s15
	s_addc_u32 s7, s7, 0
	v_cmp_ge_u64_e32 vcc, s[22:23], v[9:10]
	s_add_u32 s20, s20, 8
	v_add3_u32 v2, v13, v2, v5
	s_addc_u32 s21, s21, 0
	s_cbranch_vccnz .LBB0_9
; %bb.7:                                ;   in Loop: Header=BB0_2 Depth=1
	v_mov_b32_e32 v11, v4
	v_mov_b32_e32 v10, v3
	s_branch .LBB0_2
.LBB0_8:
	v_mov_b32_e32 v1, v6
	v_mov_b32_e32 v3, v10
	;; [unrolled: 1-line block ×4, first 2 shown]
.LBB0_9:
	s_load_dwordx2 s[0:1], s[4:5], 0x28
	s_lshl_b64 s[6:7], s[14:15], 3
	s_add_u32 s2, s18, s6
	s_addc_u32 s3, s19, s7
	v_and_b32_e32 v5, 15, v0
	s_waitcnt lgkmcnt(0)
	v_cmp_gt_u64_e32 vcc, s[0:1], v[3:4]
	v_cmp_le_u64_e64 s[0:1], s[0:1], v[3:4]
	s_and_saveexec_b64 s[4:5], s[0:1]
	s_xor_b64 s[0:1], exec, s[4:5]
; %bb.10:
	v_and_b32_e32 v5, 15, v0
                                        ; implicit-def: $vgpr6_vgpr7
; %bb.11:
	s_or_saveexec_b64 s[4:5], s[0:1]
	v_mul_u32_u24_e32 v0, 0x60, v12
	v_lshlrev_b32_e32 v8, 2, v0
	s_xor_b64 exec, exec, s[4:5]
	s_cbranch_execz .LBB0_13
; %bb.12:
	s_add_u32 s0, s16, s6
	s_addc_u32 s1, s17, s7
	s_load_dwordx2 s[0:1], s[0:1], 0x0
	v_mov_b32_e32 v13, s9
	v_lshlrev_b64 v[6:7], 2, v[6:7]
	s_waitcnt lgkmcnt(0)
	v_mul_lo_u32 v11, s1, v3
	v_mul_lo_u32 v12, s0, v4
	v_mad_u64_u32 v[9:10], s[0:1], s0, v3, 0
	v_add3_u32 v10, v10, v12, v11
	v_lshlrev_b64 v[9:10], 2, v[9:10]
	v_add_co_u32_e64 v9, s[0:1], s8, v9
	v_addc_co_u32_e64 v10, s[0:1], v13, v10, s[0:1]
	v_add_co_u32_e64 v6, s[0:1], v9, v6
	v_addc_co_u32_e64 v7, s[0:1], v10, v7, s[0:1]
	v_lshlrev_b32_e32 v9, 2, v5
	v_add_co_u32_e64 v6, s[0:1], v6, v9
	v_addc_co_u32_e64 v7, s[0:1], 0, v7, s[0:1]
	global_load_dword v10, v[6:7], off
	global_load_dword v11, v[6:7], off offset:64
	global_load_dword v12, v[6:7], off offset:128
	;; [unrolled: 1-line block ×5, first 2 shown]
	v_or_b32_e32 v6, v0, v5
	v_add_u32_e32 v0, v0, v5
	v_lshl_add_u32 v6, v6, 2, 0
	v_lshl_add_u32 v0, v0, 2, 0
	v_add3_u32 v7, 0, v8, v9
	s_waitcnt vmcnt(5)
	ds_write_b32 v6, v10
	s_waitcnt vmcnt(4)
	ds_write_b32 v0, v11 offset:64
	s_waitcnt vmcnt(2)
	ds_write2_b32 v7, v12, v13 offset0:32 offset1:48
	s_waitcnt vmcnt(0)
	ds_write2_b32 v7, v14, v15 offset0:64 offset1:80
.LBB0_13:
	s_or_b64 exec, exec, s[4:5]
	v_lshlrev_b32_e32 v6, 2, v5
	v_add_u32_e32 v0, 0, v8
	v_add3_u32 v20, 0, v6, v8
	s_load_dwordx2 s[2:3], s[2:3], 0x0
	s_waitcnt lgkmcnt(0)
	s_barrier
	v_add_u32_e32 v21, v0, v6
	ds_read2_b32 v[6:7], v20 offset0:16 offset1:32
	ds_read_b32 v10, v21
	ds_read2_b32 v[8:9], v20 offset0:48 offset1:64
	ds_read_b32 v11, v20 offset:320
	s_movk_i32 s0, 0x3aee
	s_mov_b32 s1, 0xb8003800
	s_waitcnt lgkmcnt(2)
	v_pk_add_f16 v12, v10, v7
	s_waitcnt lgkmcnt(1)
	v_pk_add_f16 v15, v7, v9
	v_pk_fma_f16 v10, v15, 0.5, v10 op_sel_hi:[1,0,1] neg_lo:[1,0,0] neg_hi:[1,0,0]
	v_pk_add_f16 v7, v7, v9 neg_lo:[0,1] neg_hi:[0,1]
	v_pk_add_f16 v12, v12, v9
	v_pk_fma_f16 v9, v7, s0, v10 op_sel:[0,0,1] op_sel_hi:[1,0,0] neg_lo:[1,0,0] neg_hi:[1,0,0]
	v_pk_fma_f16 v7, v7, s0, v10 op_sel:[0,0,1] op_sel_hi:[1,0,0]
	s_waitcnt lgkmcnt(0)
	v_pk_add_f16 v10, v8, v11
	v_pk_add_f16 v13, v6, v8
	v_pk_fma_f16 v6, v10, 0.5, v6 op_sel_hi:[1,0,1] neg_lo:[1,0,0] neg_hi:[1,0,0]
	v_pk_add_f16 v8, v8, v11 neg_lo:[0,1] neg_hi:[0,1]
	v_pk_fma_f16 v10, v8, s0, v6 op_sel:[0,0,1] op_sel_hi:[1,0,0]
	v_pk_fma_f16 v6, v8, s0, v6 op_sel:[0,0,1] op_sel_hi:[1,0,0] neg_lo:[1,0,0] neg_hi:[1,0,0]
	v_pk_add_f16 v13, v13, v11
	v_lshrrev_b32_e32 v8, 16, v6
	v_mul_f16_e32 v11, 0x3aee, v10
	v_fma_f16 v8, v8, 0.5, -v11
	v_pk_mul_f16 v11, v6, s0 op_sel_hi:[1,0]
	v_pk_fma_f16 v15, v10, s1, v11 op_sel:[0,0,1] op_sel_hi:[1,1,0]
	v_pk_fma_f16 v11, v10, s1, v11 op_sel:[0,0,1] op_sel_hi:[1,1,0] neg_lo:[0,0,1] neg_hi:[0,0,1]
	s_mov_b32 s1, 0xffff
	v_lshrrev_b32_e32 v10, 16, v10
	v_mul_f16_e32 v6, -0.5, v6
	v_bfi_b32 v17, s1, v15, v11
	v_fma_f16 v6, v10, s0, v6
	v_add_f16_sdwa v16, v9, v8 dst_sel:DWORD dst_unused:UNUSED_PAD src0_sel:WORD_1 src1_sel:DWORD
	v_pk_add_f16 v35, v7, v17
	v_add_f16_e32 v36, v9, v6
	v_mad_u32_u24 v14, v5, 20, v20
	v_alignbit_b32 v10, v36, v35, 16
	v_pack_b32_f16 v18, v16, v35
	s_barrier
	ds_write2_b32 v14, v18, v10 offset0:1 offset1:2
	v_alignbit_b32 v10, v7, v9, 16
	v_pack_b32_f16 v8, v8, v15
	v_alignbit_b32 v7, v9, v7, 16
	v_alignbit_b32 v6, v6, v11, 16
	v_pk_add_f16 v18, v12, v13 neg_lo:[0,1] neg_hi:[0,1]
	v_pk_add_f16 v19, v10, v8 neg_lo:[0,1] neg_hi:[0,1]
	;; [unrolled: 1-line block ×3, first 2 shown]
	v_pk_add_f16 v22, v12, v13
	v_lshrrev_b32_e32 v17, 16, v35
	v_lshrrev_b32_e32 v37, 16, v18
	;; [unrolled: 1-line block ×3, first 2 shown]
	v_cmp_gt_u32_e64 s[0:1], 6, v5
	v_lshrrev_b32_e32 v30, 16, v6
	ds_write2_b32 v14, v18, v19 offset0:3 offset1:4
	ds_write2_b32 v14, v22, v6 offset1:5
	s_waitcnt lgkmcnt(0)
	s_barrier
	s_waitcnt lgkmcnt(0)
                                        ; implicit-def: $vgpr23
                                        ; implicit-def: $vgpr24
                                        ; implicit-def: $vgpr26
                                        ; implicit-def: $vgpr31
                                        ; implicit-def: $vgpr32
                                        ; implicit-def: $vgpr25
                                        ; implicit-def: $vgpr27
                                        ; implicit-def: $vgpr29
                                        ; implicit-def: $vgpr28
                                        ; implicit-def: $vgpr34
                                        ; implicit-def: $vgpr33
                                        ; implicit-def: $vgpr9
                                        ; implicit-def: $vgpr12
                                        ; implicit-def: $vgpr14
                                        ; implicit-def: $vgpr10
	s_and_saveexec_b64 s[4:5], s[0:1]
	s_cbranch_execz .LBB0_15
; %bb.14:
	ds_read2_b32 v[8:9], v20 offset0:42 offset1:48
	ds_read2_b32 v[12:13], v20 offset0:54 offset1:60
	;; [unrolled: 1-line block ×7, first 2 shown]
	ds_read_b32 v22, v21
	ds_read_b32 v28, v20 offset:360
	s_waitcnt lgkmcnt(8)
	v_lshrrev_b32_e32 v23, 16, v9
	s_waitcnt lgkmcnt(7)
	v_lshrrev_b32_e32 v24, 16, v12
	v_lshrrev_b32_e32 v26, 16, v13
	s_waitcnt lgkmcnt(3)
	v_lshrrev_b32_e32 v31, 16, v14
	;; [unrolled: 3-line block ×4, first 2 shown]
	v_lshrrev_b32_e32 v35, 16, v16
	v_lshrrev_b32_e32 v36, 16, v17
	;; [unrolled: 1-line block ×7, first 2 shown]
.LBB0_15:
	s_or_b64 exec, exec, s[4:5]
	s_barrier
	s_and_saveexec_b64 s[4:5], s[0:1]
	s_cbranch_execz .LBB0_17
; %bb.16:
	s_movk_i32 s0, 0xab
	v_mul_lo_u16_sdwa v39, v5, s0 dst_sel:DWORD dst_unused:UNUSED_PAD src0_sel:BYTE_0 src1_sel:DWORD
	v_lshrrev_b16_e32 v39, 10, v39
	v_mul_lo_u16_e32 v39, 6, v39
	v_sub_u16_e32 v39, v5, v39
	v_mul_lo_u16_e32 v39, 15, v39
	v_mov_b32_e32 v40, 2
	v_lshlrev_b32_sdwa v47, v40, v39 dst_sel:DWORD dst_unused:UNUSED_PAD src0_sel:DWORD src1_sel:BYTE_0
	global_load_dwordx4 v[39:42], v47, s[12:13]
	global_load_dwordx4 v[43:46], v47, s[12:13] offset:16
	s_movk_i32 s1, 0x39a8
	s_mov_b32 s0, 0xb9a8
	s_mov_b32 s6, 0xb61f
	s_movk_i32 s7, 0x3b64
	s_mov_b32 s8, 0xbb64
	s_movk_i32 s9, 0x361f
	s_waitcnt vmcnt(1)
	v_mul_f16_sdwa v48, v37, v41 dst_sel:DWORD dst_unused:UNUSED_PAD src0_sel:DWORD src1_sel:WORD_1
	v_mul_f16_sdwa v49, v38, v42 dst_sel:DWORD dst_unused:UNUSED_PAD src0_sel:DWORD src1_sel:WORD_1
	;; [unrolled: 1-line block ×4, first 2 shown]
	v_fma_f16 v48, v18, v41, v48
	v_fma_f16 v49, v19, v42, v49
	v_mul_f16_sdwa v18, v18, v41 dst_sel:DWORD dst_unused:UNUSED_PAD src0_sel:DWORD src1_sel:WORD_1
	v_mul_f16_sdwa v19, v19, v42 dst_sel:DWORD dst_unused:UNUSED_PAD src0_sel:DWORD src1_sel:WORD_1
	v_fma_f16 v50, v17, v40, v50
	v_fma_f16 v51, v16, v39, v51
	v_mul_f16_sdwa v16, v16, v39 dst_sel:DWORD dst_unused:UNUSED_PAD src0_sel:DWORD src1_sel:WORD_1
	v_mul_f16_sdwa v17, v17, v40 dst_sel:DWORD dst_unused:UNUSED_PAD src0_sel:DWORD src1_sel:WORD_1
	v_fma_f16 v39, v35, v39, -v16
	v_fma_f16 v41, v37, v41, -v18
	;; [unrolled: 1-line block ×4, first 2 shown]
	global_load_dwordx3 v[35:37], v47, s[12:13] offset:48
	global_load_dwordx4 v[16:19], v47, s[12:13] offset:32
	s_waitcnt vmcnt(0)
	v_mul_f16_sdwa v47, v32, v19 dst_sel:DWORD dst_unused:UNUSED_PAD src0_sel:DWORD src1_sel:WORD_1
	v_fma_f16 v47, v15, v19, v47
	v_mul_f16_sdwa v15, v15, v19 dst_sel:DWORD dst_unused:UNUSED_PAD src0_sel:DWORD src1_sel:WORD_1
	v_mul_f16_sdwa v42, v31, v18 dst_sel:DWORD dst_unused:UNUSED_PAD src0_sel:DWORD src1_sel:WORD_1
	;; [unrolled: 1-line block ×4, first 2 shown]
	v_fma_f16 v15, v32, v19, -v15
	v_mul_f16_sdwa v19, v23, v46 dst_sel:DWORD dst_unused:UNUSED_PAD src0_sel:DWORD src1_sel:WORD_1
	v_fma_f16 v42, v14, v18, v42
	v_mul_f16_sdwa v14, v14, v18 dst_sel:DWORD dst_unused:UNUSED_PAD src0_sel:DWORD src1_sel:WORD_1
	v_fma_f16 v52, v13, v17, v52
	v_fma_f16 v53, v12, v16, v53
	v_mul_f16_sdwa v12, v12, v16 dst_sel:DWORD dst_unused:UNUSED_PAD src0_sel:DWORD src1_sel:WORD_1
	v_mul_f16_sdwa v13, v13, v17 dst_sel:DWORD dst_unused:UNUSED_PAD src0_sel:DWORD src1_sel:WORD_1
	v_fma_f16 v19, v9, v46, v19
	v_mul_f16_sdwa v9, v9, v46 dst_sel:DWORD dst_unused:UNUSED_PAD src0_sel:DWORD src1_sel:WORD_1
	v_fma_f16 v12, v24, v16, -v12
	v_fma_f16 v14, v31, v18, -v14
	v_fma_f16 v13, v26, v17, -v13
	v_mul_f16_sdwa v16, v30, v43 dst_sel:DWORD dst_unused:UNUSED_PAD src0_sel:DWORD src1_sel:WORD_1
	v_mul_f16_sdwa v17, v33, v44 dst_sel:DWORD dst_unused:UNUSED_PAD src0_sel:DWORD src1_sel:WORD_1
	;; [unrolled: 1-line block ×3, first 2 shown]
	v_fma_f16 v9, v23, v46, -v9
	v_mul_f16_sdwa v23, v25, v35 dst_sel:DWORD dst_unused:UNUSED_PAD src0_sel:DWORD src1_sel:WORD_1
	v_mul_f16_sdwa v24, v27, v36 dst_sel:DWORD dst_unused:UNUSED_PAD src0_sel:DWORD src1_sel:WORD_1
	;; [unrolled: 1-line block ×3, first 2 shown]
	v_fma_f16 v16, v6, v43, v16
	v_fma_f16 v17, v7, v44, v17
	v_mul_f16_sdwa v7, v7, v44 dst_sel:DWORD dst_unused:UNUSED_PAD src0_sel:DWORD src1_sel:WORD_1
	v_mul_f16_sdwa v6, v6, v43 dst_sel:DWORD dst_unused:UNUSED_PAD src0_sel:DWORD src1_sel:WORD_1
	v_fma_f16 v18, v8, v45, v18
	v_mul_f16_sdwa v8, v8, v45 dst_sel:DWORD dst_unused:UNUSED_PAD src0_sel:DWORD src1_sel:WORD_1
	v_fma_f16 v23, v10, v35, v23
	v_fma_f16 v24, v11, v36, v24
	v_mul_f16_sdwa v11, v11, v36 dst_sel:DWORD dst_unused:UNUSED_PAD src0_sel:DWORD src1_sel:WORD_1
	v_mul_f16_sdwa v10, v10, v35 dst_sel:DWORD dst_unused:UNUSED_PAD src0_sel:DWORD src1_sel:WORD_1
	v_fma_f16 v26, v28, v37, v26
	v_mul_f16_sdwa v28, v28, v37 dst_sel:DWORD dst_unused:UNUSED_PAD src0_sel:DWORD src1_sel:WORD_1
	v_fma_f16 v8, v34, v45, -v8
	v_fma_f16 v7, v33, v44, -v7
	;; [unrolled: 1-line block ×6, first 2 shown]
	v_sub_f16_e32 v25, v18, v26
	v_sub_f16_e32 v26, v48, v42
	;; [unrolled: 1-line block ×9, first 2 shown]
	v_lshrrev_b32_e32 v53, 16, v22
	v_sub_f16_e32 v12, v39, v12
	v_sub_f16_e32 v23, v16, v23
	;; [unrolled: 1-line block ×5, first 2 shown]
	v_add_f16_e32 v31, v26, v27
	v_add_f16_e32 v33, v19, v15
	;; [unrolled: 1-line block ×4, first 2 shown]
	v_sub_f16_e32 v9, v53, v9
	v_sub_f16_e32 v47, v49, v47
	;; [unrolled: 1-line block ×5, first 2 shown]
	v_fma_f16 v36, v35, s1, v33
	v_fma_f16 v43, v31, s1, v42
	v_sub_f16_e32 v54, v9, v47
	v_fma_f16 v32, v30, s1, v29
	v_fma_f16 v36, v34, s1, v36
	;; [unrolled: 1-line block ×5, first 2 shown]
	v_fma_f16 v45, v33, 2.0, -v36
	v_fma_f16 v46, v42, 2.0, -v43
	v_fma_f16 v55, v35, s0, v55
	v_fma_f16 v44, v29, 2.0, -v32
	v_fma_f16 v52, v46, s6, v45
	;; [unrolled: 2-line block ×3, first 2 shown]
	v_fma_f16 v44, v44, s6, v56
	v_fma_f16 v29, v12, 2.0, -v29
	v_fma_f16 v30, v14, 2.0, -v30
	v_fma_f16 v44, v46, s8, v44
	v_fma_f16 v31, v26, 2.0, -v31
	v_fma_f16 v46, v30, s0, v29
	;; [unrolled: 2-line block ×3, first 2 shown]
	v_fma_f16 v31, v31, s0, v42
	v_fma_f16 v30, v30, s1, v31
	v_fma_f16 v31, v13, 2.0, -v34
	v_fma_f16 v33, v19, 2.0, -v33
	v_fma_f16 v19, v22, 2.0, -v19
	v_fma_f16 v22, v49, 2.0, -v47
	v_fma_f16 v13, v40, 2.0, -v13
	v_fma_f16 v7, v7, 2.0, -v11
	v_fma_f16 v11, v51, 2.0, -v37
	v_fma_f16 v16, v16, 2.0, -v23
	v_fma_f16 v14, v41, 2.0, -v14
	v_fma_f16 v8, v8, 2.0, -v27
	v_fma_f16 v54, v9, 2.0, -v54
	v_fma_f16 v12, v39, 2.0, -v12
	v_fma_f16 v6, v6, 2.0, -v10
	v_fma_f16 v10, v48, 2.0, -v26
	v_fma_f16 v18, v18, 2.0, -v25
	v_fma_f16 v9, v53, 2.0, -v9
	v_fma_f16 v15, v38, 2.0, -v15
	v_fma_f16 v23, v50, 2.0, -v28
	v_fma_f16 v17, v17, 2.0, -v24
	v_sub_f16_e32 v22, v19, v22
	v_sub_f16_e32 v7, v13, v7
	;; [unrolled: 1-line block ×4, first 2 shown]
	v_fma_f16 v34, v28, 2.0, -v35
	v_sub_f16_e32 v6, v12, v6
	v_sub_f16_e32 v18, v10, v18
	v_add_f16_e32 v25, v22, v7
	v_add_f16_e32 v26, v16, v8
	v_sub_f16_e32 v15, v9, v15
	v_sub_f16_e32 v17, v23, v17
	v_fma_f16 v35, v34, s0, v33
	v_sub_f16_e32 v24, v6, v18
	v_fma_f16 v27, v26, s1, v25
	;; [unrolled: 2-line block ×3, first 2 shown]
	v_fma_f16 v31, v31, s0, v54
	v_fma_f16 v27, v24, s1, v27
	;; [unrolled: 1-line block ×3, first 2 shown]
	v_fma_f16 v24, v6, 2.0, -v24
	v_fma_f16 v19, v19, 2.0, -v22
	;; [unrolled: 1-line block ×9, first 2 shown]
	v_fma_f16 v31, v34, s0, v31
	v_fma_f16 v37, v26, s0, v37
	v_fma_f16 v26, v16, 2.0, -v26
	v_fma_f16 v38, v22, 2.0, -v25
	;; [unrolled: 1-line block ×5, first 2 shown]
	v_sub_f16_e32 v17, v19, v17
	v_sub_f16_e32 v8, v6, v8
	;; [unrolled: 1-line block ×4, first 2 shown]
	v_fma_f16 v39, v26, s0, v38
	v_fma_f16 v13, v29, 2.0, -v46
	v_fma_f16 v18, v15, s8, v16
	v_fma_f16 v22, v54, 2.0, -v31
	v_fma_f16 v6, v6, 2.0, -v8
	;; [unrolled: 1-line block ×5, first 2 shown]
	v_fma_f16 v39, v24, s1, v39
	v_fma_f16 v24, v24, s0, v40
	;; [unrolled: 1-line block ×5, first 2 shown]
	v_sub_f16_e32 v11, v19, v11
	v_sub_f16_e32 v6, v9, v6
	v_fma_f16 v24, v26, s0, v24
	v_fma_f16 v12, v46, s7, v12
	;; [unrolled: 1-line block ×4, first 2 shown]
	v_fma_f16 v19, v19, 2.0, -v11
	v_fma_f16 v9, v9, 2.0, -v6
	v_fma_f16 v34, v43, s7, v36
	v_fma_f16 v14, v30, s8, v14
	v_fma_f16 v26, v35, 2.0, -v12
	v_add_f16_e32 v8, v17, v8
	v_sub_f16_e32 v10, v7, v10
	v_fma_f16 v33, v38, 2.0, -v39
	v_fma_f16 v35, v40, 2.0, -v24
	v_fma_f16 v16, v16, 2.0, -v18
	v_fma_f16 v22, v22, 2.0, -v13
	v_pack_b32_f16 v9, v19, v9
	v_fma_f16 v34, v32, s9, v34
	v_fma_f16 v32, v32, s7, v55
	v_fma_f16 v29, v31, 2.0, -v14
	v_fma_f16 v30, v45, 2.0, -v52
	v_fma_f16 v31, v56, 2.0, -v44
	v_fma_f16 v17, v17, 2.0, -v8
	v_fma_f16 v7, v7, 2.0, -v10
	ds_write_b32 v21, v9
	v_pack_b32_f16 v9, v16, v22
	v_pack_b32_f16 v16, v33, v35
	v_fma_f16 v32, v43, s6, v32
	v_fma_f16 v25, v25, 2.0, -v27
	v_fma_f16 v28, v28, 2.0, -v37
	ds_write2_b32 v20, v9, v16 offset0:6 offset1:12
	v_pack_b32_f16 v9, v30, v31
	v_pack_b32_f16 v7, v17, v7
	v_fma_f16 v15, v36, 2.0, -v34
	v_fma_f16 v23, v55, 2.0, -v32
	ds_write2_b32 v20, v9, v7 offset0:18 offset1:24
	v_pack_b32_f16 v7, v26, v29
	v_pack_b32_f16 v9, v25, v28
	ds_write2_b32 v20, v7, v9 offset0:30 offset1:36
	v_pack_b32_f16 v7, v15, v23
	v_pack_b32_f16 v6, v11, v6
	;; [unrolled: 3-line block ×5, first 2 shown]
	ds_write2_b32 v20, v6, v7 offset0:78 offset1:84
	v_pack_b32_f16 v6, v34, v32
	ds_write_b32 v20, v6 offset:360
.LBB0_17:
	s_or_b64 exec, exec, s[4:5]
	s_waitcnt lgkmcnt(0)
	s_barrier
	s_and_saveexec_b64 s[0:1], vcc
	s_cbranch_execz .LBB0_19
; %bb.18:
	v_mul_lo_u32 v6, s3, v3
	v_mul_lo_u32 v7, s2, v4
	v_mad_u64_u32 v[3:4], s[0:1], s2, v3, 0
	v_lshl_add_u32 v9, v5, 2, v0
	v_mov_b32_e32 v0, s11
	v_add3_u32 v4, v4, v7, v6
	v_lshlrev_b64 v[3:4], 2, v[3:4]
	v_mov_b32_e32 v6, 0
	v_add_co_u32_e32 v3, vcc, s10, v3
	v_addc_co_u32_e32 v4, vcc, v0, v4, vcc
	v_lshlrev_b64 v[0:1], 2, v[1:2]
	ds_read2_b32 v[7:8], v9 offset1:16
	v_add_co_u32_e32 v10, vcc, v3, v0
	v_addc_co_u32_e32 v4, vcc, v4, v1, vcc
	v_lshlrev_b64 v[0:1], 2, v[5:6]
	ds_read2_b32 v[2:3], v9 offset0:32 offset1:48
	v_add_co_u32_e32 v0, vcc, v10, v0
	v_addc_co_u32_e32 v1, vcc, v4, v1, vcc
	s_waitcnt lgkmcnt(1)
	global_store_dword v[0:1], v7, off
	v_add_u32_e32 v0, 16, v5
	v_mov_b32_e32 v1, v6
	v_lshlrev_b64 v[0:1], 2, v[0:1]
	v_add_co_u32_e32 v0, vcc, v10, v0
	v_addc_co_u32_e32 v1, vcc, v4, v1, vcc
	global_store_dword v[0:1], v8, off
	v_add_u32_e32 v0, 32, v5
	v_mov_b32_e32 v1, v6
	v_lshlrev_b64 v[0:1], 2, v[0:1]
	v_add_co_u32_e32 v0, vcc, v10, v0
	v_addc_co_u32_e32 v1, vcc, v4, v1, vcc
	s_waitcnt lgkmcnt(0)
	global_store_dword v[0:1], v2, off
	v_add_u32_e32 v0, 48, v5
	v_mov_b32_e32 v1, v6
	v_lshlrev_b64 v[0:1], 2, v[0:1]
	v_add_co_u32_e32 v0, vcc, v10, v0
	v_addc_co_u32_e32 v1, vcc, v4, v1, vcc
	global_store_dword v[0:1], v3, off
	v_add_u32_e32 v0, 64, v5
	v_mov_b32_e32 v1, v6
	ds_read2_b32 v[2:3], v9 offset0:64 offset1:80
	v_lshlrev_b64 v[0:1], 2, v[0:1]
	v_add_u32_e32 v5, 0x50, v5
	v_add_co_u32_e32 v0, vcc, v10, v0
	v_addc_co_u32_e32 v1, vcc, v4, v1, vcc
	s_waitcnt lgkmcnt(0)
	global_store_dword v[0:1], v2, off
	v_lshlrev_b64 v[0:1], 2, v[5:6]
	v_add_co_u32_e32 v0, vcc, v10, v0
	v_addc_co_u32_e32 v1, vcc, v4, v1, vcc
	global_store_dword v[0:1], v3, off
.LBB0_19:
	s_endpgm
	.section	.rodata,"a",@progbits
	.p2align	6, 0x0
	.amdhsa_kernel fft_rtc_back_len96_factors_6_16_wgs_128_tpt_16_half_op_CI_CI_unitstride_sbrr_dirReg
		.amdhsa_group_segment_fixed_size 0
		.amdhsa_private_segment_fixed_size 0
		.amdhsa_kernarg_size 104
		.amdhsa_user_sgpr_count 6
		.amdhsa_user_sgpr_private_segment_buffer 1
		.amdhsa_user_sgpr_dispatch_ptr 0
		.amdhsa_user_sgpr_queue_ptr 0
		.amdhsa_user_sgpr_kernarg_segment_ptr 1
		.amdhsa_user_sgpr_dispatch_id 0
		.amdhsa_user_sgpr_flat_scratch_init 0
		.amdhsa_user_sgpr_private_segment_size 0
		.amdhsa_uses_dynamic_stack 0
		.amdhsa_system_sgpr_private_segment_wavefront_offset 0
		.amdhsa_system_sgpr_workgroup_id_x 1
		.amdhsa_system_sgpr_workgroup_id_y 0
		.amdhsa_system_sgpr_workgroup_id_z 0
		.amdhsa_system_sgpr_workgroup_info 0
		.amdhsa_system_vgpr_workitem_id 0
		.amdhsa_next_free_vgpr 57
		.amdhsa_next_free_sgpr 28
		.amdhsa_reserve_vcc 1
		.amdhsa_reserve_flat_scratch 0
		.amdhsa_float_round_mode_32 0
		.amdhsa_float_round_mode_16_64 0
		.amdhsa_float_denorm_mode_32 3
		.amdhsa_float_denorm_mode_16_64 3
		.amdhsa_dx10_clamp 1
		.amdhsa_ieee_mode 1
		.amdhsa_fp16_overflow 0
		.amdhsa_exception_fp_ieee_invalid_op 0
		.amdhsa_exception_fp_denorm_src 0
		.amdhsa_exception_fp_ieee_div_zero 0
		.amdhsa_exception_fp_ieee_overflow 0
		.amdhsa_exception_fp_ieee_underflow 0
		.amdhsa_exception_fp_ieee_inexact 0
		.amdhsa_exception_int_div_zero 0
	.end_amdhsa_kernel
	.text
.Lfunc_end0:
	.size	fft_rtc_back_len96_factors_6_16_wgs_128_tpt_16_half_op_CI_CI_unitstride_sbrr_dirReg, .Lfunc_end0-fft_rtc_back_len96_factors_6_16_wgs_128_tpt_16_half_op_CI_CI_unitstride_sbrr_dirReg
                                        ; -- End function
	.section	.AMDGPU.csdata,"",@progbits
; Kernel info:
; codeLenInByte = 4172
; NumSgprs: 32
; NumVgprs: 57
; ScratchSize: 0
; MemoryBound: 0
; FloatMode: 240
; IeeeMode: 1
; LDSByteSize: 0 bytes/workgroup (compile time only)
; SGPRBlocks: 3
; VGPRBlocks: 14
; NumSGPRsForWavesPerEU: 32
; NumVGPRsForWavesPerEU: 57
; Occupancy: 4
; WaveLimiterHint : 1
; COMPUTE_PGM_RSRC2:SCRATCH_EN: 0
; COMPUTE_PGM_RSRC2:USER_SGPR: 6
; COMPUTE_PGM_RSRC2:TRAP_HANDLER: 0
; COMPUTE_PGM_RSRC2:TGID_X_EN: 1
; COMPUTE_PGM_RSRC2:TGID_Y_EN: 0
; COMPUTE_PGM_RSRC2:TGID_Z_EN: 0
; COMPUTE_PGM_RSRC2:TIDIG_COMP_CNT: 0
	.type	__hip_cuid_3a306d7b66e1c094,@object ; @__hip_cuid_3a306d7b66e1c094
	.section	.bss,"aw",@nobits
	.globl	__hip_cuid_3a306d7b66e1c094
__hip_cuid_3a306d7b66e1c094:
	.byte	0                               ; 0x0
	.size	__hip_cuid_3a306d7b66e1c094, 1

	.ident	"AMD clang version 19.0.0git (https://github.com/RadeonOpenCompute/llvm-project roc-6.4.0 25133 c7fe45cf4b819c5991fe208aaa96edf142730f1d)"
	.section	".note.GNU-stack","",@progbits
	.addrsig
	.addrsig_sym __hip_cuid_3a306d7b66e1c094
	.amdgpu_metadata
---
amdhsa.kernels:
  - .args:
      - .actual_access:  read_only
        .address_space:  global
        .offset:         0
        .size:           8
        .value_kind:     global_buffer
      - .offset:         8
        .size:           8
        .value_kind:     by_value
      - .actual_access:  read_only
        .address_space:  global
        .offset:         16
        .size:           8
        .value_kind:     global_buffer
      - .actual_access:  read_only
        .address_space:  global
        .offset:         24
        .size:           8
        .value_kind:     global_buffer
      - .actual_access:  read_only
        .address_space:  global
        .offset:         32
        .size:           8
        .value_kind:     global_buffer
      - .offset:         40
        .size:           8
        .value_kind:     by_value
      - .actual_access:  read_only
        .address_space:  global
        .offset:         48
        .size:           8
        .value_kind:     global_buffer
      - .actual_access:  read_only
        .address_space:  global
        .offset:         56
        .size:           8
        .value_kind:     global_buffer
      - .offset:         64
        .size:           4
        .value_kind:     by_value
      - .actual_access:  read_only
        .address_space:  global
        .offset:         72
        .size:           8
        .value_kind:     global_buffer
      - .actual_access:  read_only
        .address_space:  global
        .offset:         80
        .size:           8
        .value_kind:     global_buffer
      - .actual_access:  read_only
        .address_space:  global
        .offset:         88
        .size:           8
        .value_kind:     global_buffer
      - .actual_access:  write_only
        .address_space:  global
        .offset:         96
        .size:           8
        .value_kind:     global_buffer
    .group_segment_fixed_size: 0
    .kernarg_segment_align: 8
    .kernarg_segment_size: 104
    .language:       OpenCL C
    .language_version:
      - 2
      - 0
    .max_flat_workgroup_size: 128
    .name:           fft_rtc_back_len96_factors_6_16_wgs_128_tpt_16_half_op_CI_CI_unitstride_sbrr_dirReg
    .private_segment_fixed_size: 0
    .sgpr_count:     32
    .sgpr_spill_count: 0
    .symbol:         fft_rtc_back_len96_factors_6_16_wgs_128_tpt_16_half_op_CI_CI_unitstride_sbrr_dirReg.kd
    .uniform_work_group_size: 1
    .uses_dynamic_stack: false
    .vgpr_count:     57
    .vgpr_spill_count: 0
    .wavefront_size: 64
amdhsa.target:   amdgcn-amd-amdhsa--gfx906
amdhsa.version:
  - 1
  - 2
...

	.end_amdgpu_metadata
